;; amdgpu-corpus repo=ROCm/rocFFT kind=compiled arch=gfx906 opt=O3
	.text
	.amdgcn_target "amdgcn-amd-amdhsa--gfx906"
	.amdhsa_code_object_version 6
	.protected	fft_rtc_back_len840_factors_2_2_2_3_5_7_wgs_56_tpt_56_halfLds_half_ip_CI_unitstride_sbrr_dirReg ; -- Begin function fft_rtc_back_len840_factors_2_2_2_3_5_7_wgs_56_tpt_56_halfLds_half_ip_CI_unitstride_sbrr_dirReg
	.globl	fft_rtc_back_len840_factors_2_2_2_3_5_7_wgs_56_tpt_56_halfLds_half_ip_CI_unitstride_sbrr_dirReg
	.p2align	8
	.type	fft_rtc_back_len840_factors_2_2_2_3_5_7_wgs_56_tpt_56_halfLds_half_ip_CI_unitstride_sbrr_dirReg,@function
fft_rtc_back_len840_factors_2_2_2_3_5_7_wgs_56_tpt_56_halfLds_half_ip_CI_unitstride_sbrr_dirReg: ; @fft_rtc_back_len840_factors_2_2_2_3_5_7_wgs_56_tpt_56_halfLds_half_ip_CI_unitstride_sbrr_dirReg
; %bb.0:
	s_load_dwordx2 s[2:3], s[4:5], 0x50
	s_load_dwordx4 s[8:11], s[4:5], 0x0
	s_load_dwordx2 s[12:13], s[4:5], 0x18
	v_mul_u32_u24_e32 v1, 0x493, v0
	v_add_u32_sdwa v5, s6, v1 dst_sel:DWORD dst_unused:UNUSED_PAD src0_sel:DWORD src1_sel:WORD_1
	v_mov_b32_e32 v3, 0
	s_waitcnt lgkmcnt(0)
	v_cmp_lt_u64_e64 s[0:1], s[10:11], 2
	v_mov_b32_e32 v1, 0
	v_mov_b32_e32 v6, v3
	s_and_b64 vcc, exec, s[0:1]
	v_mov_b32_e32 v2, 0
	s_cbranch_vccnz .LBB0_8
; %bb.1:
	s_load_dwordx2 s[0:1], s[4:5], 0x10
	s_add_u32 s6, s12, 8
	s_addc_u32 s7, s13, 0
	v_mov_b32_e32 v1, 0
	v_mov_b32_e32 v2, 0
	s_waitcnt lgkmcnt(0)
	s_add_u32 s14, s0, 8
	s_addc_u32 s15, s1, 0
	s_mov_b64 s[16:17], 1
.LBB0_2:                                ; =>This Inner Loop Header: Depth=1
	s_load_dwordx2 s[18:19], s[14:15], 0x0
                                        ; implicit-def: $vgpr7_vgpr8
	s_waitcnt lgkmcnt(0)
	v_or_b32_e32 v4, s19, v6
	v_cmp_ne_u64_e32 vcc, 0, v[3:4]
	s_and_saveexec_b64 s[0:1], vcc
	s_xor_b64 s[20:21], exec, s[0:1]
	s_cbranch_execz .LBB0_4
; %bb.3:                                ;   in Loop: Header=BB0_2 Depth=1
	v_cvt_f32_u32_e32 v4, s18
	v_cvt_f32_u32_e32 v7, s19
	s_sub_u32 s0, 0, s18
	s_subb_u32 s1, 0, s19
	v_mac_f32_e32 v4, 0x4f800000, v7
	v_rcp_f32_e32 v4, v4
	v_mul_f32_e32 v4, 0x5f7ffffc, v4
	v_mul_f32_e32 v7, 0x2f800000, v4
	v_trunc_f32_e32 v7, v7
	v_mac_f32_e32 v4, 0xcf800000, v7
	v_cvt_u32_f32_e32 v7, v7
	v_cvt_u32_f32_e32 v4, v4
	v_mul_lo_u32 v8, s0, v7
	v_mul_hi_u32 v9, s0, v4
	v_mul_lo_u32 v11, s1, v4
	v_mul_lo_u32 v10, s0, v4
	v_add_u32_e32 v8, v9, v8
	v_add_u32_e32 v8, v8, v11
	v_mul_hi_u32 v9, v4, v10
	v_mul_lo_u32 v11, v4, v8
	v_mul_hi_u32 v13, v4, v8
	v_mul_hi_u32 v12, v7, v10
	v_mul_lo_u32 v10, v7, v10
	v_mul_hi_u32 v14, v7, v8
	v_add_co_u32_e32 v9, vcc, v9, v11
	v_addc_co_u32_e32 v11, vcc, 0, v13, vcc
	v_mul_lo_u32 v8, v7, v8
	v_add_co_u32_e32 v9, vcc, v9, v10
	v_addc_co_u32_e32 v9, vcc, v11, v12, vcc
	v_addc_co_u32_e32 v10, vcc, 0, v14, vcc
	v_add_co_u32_e32 v8, vcc, v9, v8
	v_addc_co_u32_e32 v9, vcc, 0, v10, vcc
	v_add_co_u32_e32 v4, vcc, v4, v8
	v_addc_co_u32_e32 v7, vcc, v7, v9, vcc
	v_mul_lo_u32 v8, s0, v7
	v_mul_hi_u32 v9, s0, v4
	v_mul_lo_u32 v10, s1, v4
	v_mul_lo_u32 v11, s0, v4
	v_add_u32_e32 v8, v9, v8
	v_add_u32_e32 v8, v8, v10
	v_mul_lo_u32 v12, v4, v8
	v_mul_hi_u32 v13, v4, v11
	v_mul_hi_u32 v14, v4, v8
	;; [unrolled: 1-line block ×3, first 2 shown]
	v_mul_lo_u32 v11, v7, v11
	v_mul_hi_u32 v9, v7, v8
	v_add_co_u32_e32 v12, vcc, v13, v12
	v_addc_co_u32_e32 v13, vcc, 0, v14, vcc
	v_mul_lo_u32 v8, v7, v8
	v_add_co_u32_e32 v11, vcc, v12, v11
	v_addc_co_u32_e32 v10, vcc, v13, v10, vcc
	v_addc_co_u32_e32 v9, vcc, 0, v9, vcc
	v_add_co_u32_e32 v8, vcc, v10, v8
	v_addc_co_u32_e32 v9, vcc, 0, v9, vcc
	v_add_co_u32_e32 v4, vcc, v4, v8
	v_addc_co_u32_e32 v9, vcc, v7, v9, vcc
	v_mad_u64_u32 v[7:8], s[0:1], v5, v9, 0
	v_mul_hi_u32 v10, v5, v4
	v_add_co_u32_e32 v11, vcc, v10, v7
	v_addc_co_u32_e32 v12, vcc, 0, v8, vcc
	v_mad_u64_u32 v[7:8], s[0:1], v6, v4, 0
	v_mad_u64_u32 v[9:10], s[0:1], v6, v9, 0
	v_add_co_u32_e32 v4, vcc, v11, v7
	v_addc_co_u32_e32 v4, vcc, v12, v8, vcc
	v_addc_co_u32_e32 v7, vcc, 0, v10, vcc
	v_add_co_u32_e32 v4, vcc, v4, v9
	v_addc_co_u32_e32 v9, vcc, 0, v7, vcc
	v_mul_lo_u32 v10, s19, v4
	v_mul_lo_u32 v11, s18, v9
	v_mad_u64_u32 v[7:8], s[0:1], s18, v4, 0
	v_add3_u32 v8, v8, v11, v10
	v_sub_u32_e32 v10, v6, v8
	v_mov_b32_e32 v11, s19
	v_sub_co_u32_e32 v7, vcc, v5, v7
	v_subb_co_u32_e64 v10, s[0:1], v10, v11, vcc
	v_subrev_co_u32_e64 v11, s[0:1], s18, v7
	v_subbrev_co_u32_e64 v10, s[0:1], 0, v10, s[0:1]
	v_cmp_le_u32_e64 s[0:1], s19, v10
	v_cndmask_b32_e64 v12, 0, -1, s[0:1]
	v_cmp_le_u32_e64 s[0:1], s18, v11
	v_cndmask_b32_e64 v11, 0, -1, s[0:1]
	v_cmp_eq_u32_e64 s[0:1], s19, v10
	v_cndmask_b32_e64 v10, v12, v11, s[0:1]
	v_add_co_u32_e64 v11, s[0:1], 2, v4
	v_addc_co_u32_e64 v12, s[0:1], 0, v9, s[0:1]
	v_add_co_u32_e64 v13, s[0:1], 1, v4
	v_addc_co_u32_e64 v14, s[0:1], 0, v9, s[0:1]
	v_subb_co_u32_e32 v8, vcc, v6, v8, vcc
	v_cmp_ne_u32_e64 s[0:1], 0, v10
	v_cmp_le_u32_e32 vcc, s19, v8
	v_cndmask_b32_e64 v10, v14, v12, s[0:1]
	v_cndmask_b32_e64 v12, 0, -1, vcc
	v_cmp_le_u32_e32 vcc, s18, v7
	v_cndmask_b32_e64 v7, 0, -1, vcc
	v_cmp_eq_u32_e32 vcc, s19, v8
	v_cndmask_b32_e32 v7, v12, v7, vcc
	v_cmp_ne_u32_e32 vcc, 0, v7
	v_cndmask_b32_e64 v7, v13, v11, s[0:1]
	v_cndmask_b32_e32 v8, v9, v10, vcc
	v_cndmask_b32_e32 v7, v4, v7, vcc
.LBB0_4:                                ;   in Loop: Header=BB0_2 Depth=1
	s_andn2_saveexec_b64 s[0:1], s[20:21]
	s_cbranch_execz .LBB0_6
; %bb.5:                                ;   in Loop: Header=BB0_2 Depth=1
	v_cvt_f32_u32_e32 v4, s18
	s_sub_i32 s20, 0, s18
	v_rcp_iflag_f32_e32 v4, v4
	v_mul_f32_e32 v4, 0x4f7ffffe, v4
	v_cvt_u32_f32_e32 v4, v4
	v_mul_lo_u32 v7, s20, v4
	v_mul_hi_u32 v7, v4, v7
	v_add_u32_e32 v4, v4, v7
	v_mul_hi_u32 v4, v5, v4
	v_mul_lo_u32 v7, v4, s18
	v_add_u32_e32 v8, 1, v4
	v_sub_u32_e32 v7, v5, v7
	v_subrev_u32_e32 v9, s18, v7
	v_cmp_le_u32_e32 vcc, s18, v7
	v_cndmask_b32_e32 v7, v7, v9, vcc
	v_cndmask_b32_e32 v4, v4, v8, vcc
	v_add_u32_e32 v8, 1, v4
	v_cmp_le_u32_e32 vcc, s18, v7
	v_cndmask_b32_e32 v7, v4, v8, vcc
	v_mov_b32_e32 v8, v3
.LBB0_6:                                ;   in Loop: Header=BB0_2 Depth=1
	s_or_b64 exec, exec, s[0:1]
	v_mul_lo_u32 v4, v8, s18
	v_mul_lo_u32 v11, v7, s19
	v_mad_u64_u32 v[9:10], s[0:1], v7, s18, 0
	s_load_dwordx2 s[0:1], s[6:7], 0x0
	s_add_u32 s16, s16, 1
	v_add3_u32 v4, v10, v11, v4
	v_sub_co_u32_e32 v5, vcc, v5, v9
	v_subb_co_u32_e32 v4, vcc, v6, v4, vcc
	s_waitcnt lgkmcnt(0)
	v_mul_lo_u32 v4, s0, v4
	v_mul_lo_u32 v6, s1, v5
	v_mad_u64_u32 v[1:2], s[0:1], s0, v5, v[1:2]
	s_addc_u32 s17, s17, 0
	s_add_u32 s6, s6, 8
	v_add3_u32 v2, v6, v2, v4
	v_mov_b32_e32 v4, s10
	v_mov_b32_e32 v5, s11
	s_addc_u32 s7, s7, 0
	v_cmp_ge_u64_e32 vcc, s[16:17], v[4:5]
	s_add_u32 s14, s14, 8
	s_addc_u32 s15, s15, 0
	s_cbranch_vccnz .LBB0_9
; %bb.7:                                ;   in Loop: Header=BB0_2 Depth=1
	v_mov_b32_e32 v5, v7
	v_mov_b32_e32 v6, v8
	s_branch .LBB0_2
.LBB0_8:
	v_mov_b32_e32 v8, v6
	v_mov_b32_e32 v7, v5
.LBB0_9:
	s_lshl_b64 s[0:1], s[10:11], 3
	s_add_u32 s0, s12, s0
	s_addc_u32 s1, s13, s1
	s_load_dwordx2 s[6:7], s[0:1], 0x0
	s_load_dwordx2 s[10:11], s[4:5], 0x20
	v_mov_b32_e32 v6, 0
                                        ; implicit-def: $vgpr10
                                        ; implicit-def: $vgpr19
                                        ; implicit-def: $vgpr11
                                        ; implicit-def: $vgpr9
                                        ; implicit-def: $vgpr13
                                        ; implicit-def: $vgpr20
                                        ; implicit-def: $vgpr15
                                        ; implicit-def: $vgpr14
                                        ; implicit-def: $vgpr16
                                        ; implicit-def: $vgpr21
                                        ; implicit-def: $vgpr17
                                        ; implicit-def: $vgpr18
                                        ; implicit-def: $vgpr26
                                        ; implicit-def: $vgpr24
                                        ; implicit-def: $vgpr27
                                        ; implicit-def: $vgpr22
                                        ; implicit-def: $vgpr28
                                        ; implicit-def: $vgpr33
                                        ; implicit-def: $vgpr29
                                        ; implicit-def: $vgpr23
                                        ; implicit-def: $vgpr30
                                        ; implicit-def: $vgpr34
                                        ; implicit-def: $vgpr31
                                        ; implicit-def: $vgpr25
                                        ; implicit-def: $vgpr32
                                        ; implicit-def: $vgpr35
                                        ; implicit-def: $vgpr12
                                        ; implicit-def: $vgpr36
	s_waitcnt lgkmcnt(0)
	v_mad_u64_u32 v[1:2], s[0:1], s6, v7, v[1:2]
	s_mov_b32 s0, 0x4924925
	v_mul_lo_u32 v3, s6, v8
	v_mul_lo_u32 v4, s7, v7
	v_mul_hi_u32 v5, v0, s0
	v_cmp_gt_u64_e32 vcc, s[10:11], v[7:8]
                                        ; implicit-def: $vgpr7
                                        ; implicit-def: $vgpr8
	v_add3_u32 v2, v4, v2, v3
	v_mul_u32_u24_e32 v3, 56, v5
	v_sub_u32_e32 v0, v0, v3
	v_lshlrev_b64 v[2:3], 2, v[1:2]
	v_mov_b32_e32 v1, 0
	s_and_saveexec_b64 s[4:5], vcc
	s_cbranch_execz .LBB0_13
; %bb.10:
	v_mov_b32_e32 v1, 0
	v_mov_b32_e32 v4, s3
	v_add_co_u32_e64 v6, s[0:1], s2, v2
	v_addc_co_u32_e64 v7, s[0:1], v4, v3, s[0:1]
	v_lshlrev_b64 v[4:5], 2, v[0:1]
                                        ; implicit-def: $vgpr36
                                        ; implicit-def: $vgpr12
	v_add_co_u32_e64 v4, s[0:1], v6, v4
	v_addc_co_u32_e64 v5, s[0:1], v7, v5, s[0:1]
	global_load_dword v8, v[4:5], off
	global_load_dword v9, v[4:5], off offset:224
	global_load_dword v14, v[4:5], off offset:448
	;; [unrolled: 1-line block ×13, first 2 shown]
	v_cmp_gt_u32_e64 s[0:1], 28, v0
	v_mov_b32_e32 v6, v1
	s_and_saveexec_b64 s[6:7], s[0:1]
	s_cbranch_execz .LBB0_12
; %bb.11:
	global_load_dword v1, v[4:5], off offset:1568
	global_load_dword v36, v[4:5], off offset:3248
	s_waitcnt vmcnt(1)
	v_lshrrev_b32_e32 v6, 16, v1
	s_waitcnt vmcnt(0)
	v_lshrrev_b32_e32 v12, 16, v36
.LBB0_12:
	s_or_b64 exec, exec, s[6:7]
	s_waitcnt vmcnt(13)
	v_lshrrev_b32_e32 v7, 16, v8
	s_waitcnt vmcnt(7)
	v_lshrrev_b32_e32 v10, 16, v19
	v_lshrrev_b32_e32 v11, 16, v9
	s_waitcnt vmcnt(5)
	v_lshrrev_b32_e32 v13, 16, v20
	;; [unrolled: 3-line block ×7, first 2 shown]
.LBB0_13:
	s_or_b64 exec, exec, s[4:5]
	v_sub_f16_e32 v4, v8, v19
	v_sub_f16_e32 v19, v14, v21
	v_fma_f16 v5, v8, 2.0, -v4
	v_sub_f16_e32 v8, v9, v20
	v_fma_f16 v20, v14, 2.0, -v19
	;; [unrolled: 2-line block ×3, first 2 shown]
	v_sub_f16_e32 v21, v18, v24
	v_sub_f16_e32 v24, v22, v33
	v_fma_f16 v40, v1, 2.0, -v14
	v_lshl_add_u32 v33, v0, 2, 0
	v_pack_b32_f16 v1, v5, v4
	v_add_u32_e32 v5, 56, v0
	v_sub_f16_e32 v39, v23, v34
	ds_write_b32 v33, v1
	v_lshl_add_u32 v34, v5, 2, 0
	v_pack_b32_f16 v1, v9, v8
	v_add_u32_e32 v4, 0x70, v0
	v_fma_f16 v18, v18, 2.0, -v21
	ds_write_b32 v34, v1
	v_lshl_add_u32 v36, v4, 2, 0
	v_pack_b32_f16 v1, v20, v19
	v_add_u32_e32 v9, 0xa8, v0
	v_fma_f16 v22, v22, 2.0, -v24
	;; [unrolled: 5-line block ×3, first 2 shown]
	v_sub_f16_e32 v43, v25, v35
	ds_write_b32 v37, v1
	v_lshl_add_u32 v38, v8, 2, 0
	v_pack_b32_f16 v1, v22, v24
	v_add_u32_e32 v35, 0x118, v0
	v_fma_f16 v25, v25, 2.0, -v43
	ds_write_b32 v38, v1
	v_lshl_add_u32 v41, v35, 2, 0
	v_pack_b32_f16 v1, v23, v39
	v_add_u32_e32 v50, 0x150, v0
	v_add_u32_e32 v18, 0x188, v0
	ds_write_b32 v41, v1
	v_lshl_add_u32 v42, v50, 2, 0
	v_pack_b32_f16 v1, v25, v43
	v_cmp_gt_u32_e64 s[0:1], 28, v0
	v_lshl_add_u32 v39, v18, 2, 0
	ds_write_b32 v42, v1
	s_and_saveexec_b64 s[4:5], s[0:1]
	s_cbranch_execz .LBB0_15
; %bb.14:
	s_mov_b32 s6, 0x5040100
	v_perm_b32 v1, v14, v40, s6
	ds_write_b32 v39, v1
.LBB0_15:
	s_or_b64 exec, exec, s[4:5]
	v_lshl_add_u32 v1, v0, 1, 0
	s_waitcnt lgkmcnt(0)
	; wave barrier
	s_waitcnt lgkmcnt(0)
	ds_read_u16 v43, v1
	ds_read_u16 v45, v1 offset:112
	ds_read_u16 v46, v1 offset:224
	;; [unrolled: 1-line block ×13, first 2 shown]
	s_and_saveexec_b64 s[4:5], s[0:1]
	s_cbranch_execz .LBB0_17
; %bb.16:
	ds_read_u16 v40, v1 offset:784
	ds_read_u16 v14, v1 offset:1624
.LBB0_17:
	s_or_b64 exec, exec, s[4:5]
	v_sub_f16_e32 v10, v7, v10
	v_sub_f16_e32 v28, v27, v28
	v_fma_f16 v7, v7, 2.0, -v10
	v_sub_f16_e32 v13, v11, v13
	v_fma_f16 v52, v27, 2.0, -v28
	;; [unrolled: 2-line block ×3, first 2 shown]
	v_sub_f16_e32 v16, v15, v16
	v_sub_f16_e32 v44, v17, v26
	v_fma_f16 v26, v6, 2.0, -v27
	v_pack_b32_f16 v6, v7, v10
	v_fma_f16 v15, v15, 2.0, -v16
	s_waitcnt lgkmcnt(0)
	; wave barrier
	s_waitcnt lgkmcnt(0)
	ds_write_b32 v33, v6
	v_pack_b32_f16 v6, v11, v13
	v_fma_f16 v17, v17, 2.0, -v44
	ds_write_b32 v34, v6
	v_pack_b32_f16 v6, v15, v16
	v_sub_f16_e32 v30, v29, v30
	ds_write_b32 v36, v6
	v_pack_b32_f16 v6, v17, v44
	v_fma_f16 v29, v29, 2.0, -v30
	v_sub_f16_e32 v32, v31, v32
	ds_write_b32 v37, v6
	v_pack_b32_f16 v6, v52, v28
	v_fma_f16 v31, v31, 2.0, -v32
	ds_write_b32 v38, v6
	v_pack_b32_f16 v6, v29, v30
	ds_write_b32 v41, v6
	v_pack_b32_f16 v6, v31, v32
	ds_write_b32 v42, v6
	s_and_saveexec_b64 s[4:5], s[0:1]
	s_cbranch_execz .LBB0_19
; %bb.18:
	s_mov_b32 s6, 0x5040100
	v_perm_b32 v6, v27, v26, s6
	ds_write_b32 v39, v6
.LBB0_19:
	s_or_b64 exec, exec, s[4:5]
	s_waitcnt lgkmcnt(0)
	; wave barrier
	s_waitcnt lgkmcnt(0)
	ds_read_u16 v28, v1
	ds_read_u16 v29, v1 offset:112
	ds_read_u16 v30, v1 offset:224
	;; [unrolled: 1-line block ×13, first 2 shown]
	v_lshlrev_b32_e32 v6, 1, v0
	v_lshlrev_b32_e32 v10, 1, v5
	;; [unrolled: 1-line block ×7, first 2 shown]
	s_and_saveexec_b64 s[4:5], s[0:1]
	s_cbranch_execz .LBB0_21
; %bb.20:
	ds_read_u16 v26, v1 offset:784
	ds_read_u16 v27, v1 offset:1624
.LBB0_21:
	s_or_b64 exec, exec, s[4:5]
	v_and_b32_e32 v35, 1, v0
	v_lshlrev_b32_e32 v7, 2, v35
	global_load_dword v50, v7, s[8:9]
	s_movk_i32 s4, 0x7c
	s_waitcnt lgkmcnt(0)
	; wave barrier
	s_waitcnt lgkmcnt(0)
	s_movk_i32 s5, 0x2fc
	v_lshlrev_b32_e32 v18, 1, v18
	s_waitcnt vmcnt(0)
	v_mul_f16_sdwa v7, v41, v50 dst_sel:DWORD dst_unused:UNUSED_PAD src0_sel:DWORD src1_sel:WORD_1
	v_mul_f16_sdwa v57, v27, v50 dst_sel:DWORD dst_unused:UNUSED_PAD src0_sel:DWORD src1_sel:WORD_1
	v_fma_f16 v7, v23, v50, v7
	v_mul_f16_sdwa v12, v44, v50 dst_sel:DWORD dst_unused:UNUSED_PAD src0_sel:DWORD src1_sel:WORD_1
	v_fma_f16 v57, v14, v50, v57
	v_fma_f16 v12, v25, v50, v12
	v_sub_f16_e32 v59, v43, v7
	v_sub_f16_e32 v7, v40, v57
	;; [unrolled: 1-line block ×3, first 2 shown]
	v_fma_f16 v12, v40, 2.0, -v7
	v_and_or_b32 v40, v6, s4, v35
	s_movk_i32 s4, 0xfc
	v_fma_f16 v43, v43, 2.0, -v59
	v_lshl_add_u32 v58, v40, 1, 0
	v_and_or_b32 v40, v10, s4, v35
	s_movk_i32 s4, 0x1fc
	v_fma_f16 v45, v45, 2.0, -v60
	ds_write_b16 v58, v43
	ds_write_b16 v58, v59 offset:4
	v_lshl_add_u32 v59, v40, 1, 0
	v_and_or_b32 v40, v11, s4, v35
	ds_write_b16 v59, v45
	ds_write_b16 v59, v60 offset:4
	v_lshl_add_u32 v60, v40, 1, 0
	v_and_or_b32 v40, v15, s4, v35
	s_movk_i32 s4, 0x3fc
	v_mul_f16_sdwa v52, v42, v50 dst_sel:DWORD dst_unused:UNUSED_PAD src0_sel:DWORD src1_sel:WORD_1
	v_mul_f16_sdwa v53, v39, v50 dst_sel:DWORD dst_unused:UNUSED_PAD src0_sel:DWORD src1_sel:WORD_1
	;; [unrolled: 1-line block ×5, first 2 shown]
	v_lshl_add_u32 v61, v40, 1, 0
	v_and_or_b32 v40, v16, s4, v35
	v_fma_f16 v52, v24, v50, v52
	v_fma_f16 v53, v22, v50, v53
	;; [unrolled: 1-line block ×5, first 2 shown]
	v_lshl_add_u32 v62, v40, 1, 0
	v_and_or_b32 v40, v17, s5, v35
	v_sub_f16_e32 v52, v46, v52
	v_sub_f16_e32 v53, v47, v53
	;; [unrolled: 1-line block ×5, first 2 shown]
	v_lshl_add_u32 v63, v40, 1, 0
	v_and_or_b32 v40, v13, s4, v35
	v_fma_f16 v46, v46, 2.0, -v52
	v_fma_f16 v47, v47, 2.0, -v53
	;; [unrolled: 1-line block ×5, first 2 shown]
	v_lshl_add_u32 v64, v40, 1, 0
	ds_write_b16 v60, v46
	ds_write_b16 v60, v52 offset:4
	ds_write_b16 v61, v47
	ds_write_b16 v61, v53 offset:4
	;; [unrolled: 2-line block ×5, first 2 shown]
	s_and_saveexec_b64 s[4:5], s[0:1]
	s_cbranch_execz .LBB0_23
; %bb.22:
	s_movk_i32 s6, 0x37c
	v_and_or_b32 v40, v18, s6, v35
	v_lshl_add_u32 v40, v40, 1, 0
	ds_write_b16 v40, v12
	ds_write_b16 v40, v7 offset:4
.LBB0_23:
	s_or_b64 exec, exec, s[4:5]
	s_waitcnt lgkmcnt(0)
	; wave barrier
	s_waitcnt lgkmcnt(0)
	ds_read_u16 v51, v1
	ds_read_u16 v52, v1 offset:112
	ds_read_u16 v53, v1 offset:224
	;; [unrolled: 1-line block ×13, first 2 shown]
	s_and_saveexec_b64 s[4:5], s[0:1]
	s_cbranch_execz .LBB0_25
; %bb.24:
	ds_read_u16 v12, v1 offset:784
	ds_read_u16 v7, v1 offset:1624
.LBB0_25:
	s_or_b64 exec, exec, s[4:5]
	v_mul_f16_sdwa v23, v23, v50 dst_sel:DWORD dst_unused:UNUSED_PAD src0_sel:DWORD src1_sel:WORD_1
	v_mul_f16_sdwa v25, v25, v50 dst_sel:DWORD dst_unused:UNUSED_PAD src0_sel:DWORD src1_sel:WORD_1
	;; [unrolled: 1-line block ×6, first 2 shown]
	v_fma_f16 v23, v41, v50, -v23
	v_fma_f16 v25, v44, v50, -v25
	;; [unrolled: 1-line block ×6, first 2 shown]
	v_mul_f16_sdwa v19, v19, v50 dst_sel:DWORD dst_unused:UNUSED_PAD src0_sel:DWORD src1_sel:WORD_1
	v_mul_f16_sdwa v14, v14, v50 dst_sel:DWORD dst_unused:UNUSED_PAD src0_sel:DWORD src1_sel:WORD_1
	v_fma_f16 v19, v36, v50, -v19
	v_fma_f16 v14, v27, v50, -v14
	v_sub_f16_e32 v23, v28, v23
	v_sub_f16_e32 v25, v29, v25
	;; [unrolled: 1-line block ×6, first 2 shown]
	v_fma_f16 v27, v28, 2.0, -v23
	v_fma_f16 v28, v29, 2.0, -v25
	;; [unrolled: 1-line block ×6, first 2 shown]
	v_sub_f16_e32 v33, v34, v19
	v_sub_f16_e32 v19, v26, v14
	v_fma_f16 v14, v26, 2.0, -v19
	v_fma_f16 v34, v34, 2.0, -v33
	s_waitcnt lgkmcnt(0)
	; wave barrier
	s_waitcnt lgkmcnt(0)
	ds_write_b16 v58, v27
	ds_write_b16 v58, v23 offset:4
	ds_write_b16 v59, v28
	ds_write_b16 v59, v25 offset:4
	;; [unrolled: 2-line block ×7, first 2 shown]
	s_and_saveexec_b64 s[4:5], s[0:1]
	s_cbranch_execz .LBB0_27
; %bb.26:
	s_movk_i32 s6, 0x37c
	v_and_or_b32 v20, v18, s6, v35
	v_lshl_add_u32 v20, v20, 1, 0
	ds_write_b16 v20, v14
	ds_write_b16 v20, v19 offset:4
.LBB0_27:
	s_or_b64 exec, exec, s[4:5]
	s_waitcnt lgkmcnt(0)
	; wave barrier
	s_waitcnt lgkmcnt(0)
	ds_read_u16 v21, v1
	ds_read_u16 v22, v1 offset:112
	ds_read_u16 v23, v1 offset:224
	ds_read_u16 v24, v1 offset:336
	ds_read_u16 v25, v1 offset:448
	ds_read_u16 v26, v1 offset:560
	ds_read_u16 v32, v1 offset:840
	ds_read_u16 v27, v1 offset:672
	ds_read_u16 v34, v1 offset:952
	ds_read_u16 v33, v1 offset:1064
	ds_read_u16 v31, v1 offset:1176
	ds_read_u16 v30, v1 offset:1288
	ds_read_u16 v29, v1 offset:1400
	ds_read_u16 v28, v1 offset:1512
	s_and_saveexec_b64 s[4:5], s[0:1]
	s_cbranch_execz .LBB0_29
; %bb.28:
	ds_read_u16 v14, v1 offset:784
	ds_read_u16 v19, v1 offset:1624
.LBB0_29:
	s_or_b64 exec, exec, s[4:5]
	v_and_b32_e32 v20, 3, v0
	v_lshlrev_b32_e32 v35, 2, v20
	global_load_dword v35, v35, s[8:9] offset:8
	s_movk_i32 s4, 0x78
	s_movk_i32 s5, 0xf8
	;; [unrolled: 1-line block ×5, first 2 shown]
	v_and_or_b32 v6, v6, s4, v20
	v_and_or_b32 v10, v10, s5, v20
	;; [unrolled: 1-line block ×7, first 2 shown]
	v_lshl_add_u32 v44, v6, 1, 0
	v_lshl_add_u32 v42, v10, 1, 0
	;; [unrolled: 1-line block ×7, first 2 shown]
	s_waitcnt lgkmcnt(0)
	; wave barrier
	s_waitcnt vmcnt(0) lgkmcnt(0)
	v_mul_f16_sdwa v6, v32, v35 dst_sel:DWORD dst_unused:UNUSED_PAD src0_sel:DWORD src1_sel:WORD_1
	v_mul_f16_sdwa v10, v34, v35 dst_sel:DWORD dst_unused:UNUSED_PAD src0_sel:DWORD src1_sel:WORD_1
	v_mul_f16_sdwa v11, v33, v35 dst_sel:DWORD dst_unused:UNUSED_PAD src0_sel:DWORD src1_sel:WORD_1
	v_mul_f16_sdwa v13, v31, v35 dst_sel:DWORD dst_unused:UNUSED_PAD src0_sel:DWORD src1_sel:WORD_1
	v_mul_f16_sdwa v15, v30, v35 dst_sel:DWORD dst_unused:UNUSED_PAD src0_sel:DWORD src1_sel:WORD_1
	v_mul_f16_sdwa v16, v29, v35 dst_sel:DWORD dst_unused:UNUSED_PAD src0_sel:DWORD src1_sel:WORD_1
	v_mul_f16_sdwa v17, v28, v35 dst_sel:DWORD dst_unused:UNUSED_PAD src0_sel:DWORD src1_sel:WORD_1
	v_mul_f16_sdwa v50, v19, v35 dst_sel:DWORD dst_unused:UNUSED_PAD src0_sel:DWORD src1_sel:WORD_1
	v_fma_f16 v6, v47, v35, v6
	v_fma_f16 v10, v49, v35, v10
	;; [unrolled: 1-line block ×8, first 2 shown]
	v_sub_f16_e32 v58, v51, v6
	v_sub_f16_e32 v10, v52, v10
	;; [unrolled: 1-line block ×8, first 2 shown]
	v_fma_f16 v50, v51, 2.0, -v58
	v_fma_f16 v51, v52, 2.0, -v10
	;; [unrolled: 1-line block ×7, first 2 shown]
	ds_write_b16 v44, v58 offset:8
	ds_write_b16 v44, v50
	ds_write_b16 v42, v51
	ds_write_b16 v42, v10 offset:8
	ds_write_b16 v41, v52
	ds_write_b16 v41, v11 offset:8
	;; [unrolled: 2-line block ×6, first 2 shown]
	s_and_saveexec_b64 s[4:5], s[0:1]
	s_cbranch_execz .LBB0_31
; %bb.30:
	s_movk_i32 s6, 0x378
	v_and_or_b32 v11, v18, s6, v20
	v_fma_f16 v10, v12, 2.0, -v6
	v_lshl_add_u32 v11, v11, 1, 0
	ds_write_b16 v11, v10
	ds_write_b16 v11, v6 offset:8
.LBB0_31:
	s_or_b64 exec, exec, s[4:5]
	v_mul_f16_sdwa v10, v47, v35 dst_sel:DWORD dst_unused:UNUSED_PAD src0_sel:DWORD src1_sel:WORD_1
	v_mul_f16_sdwa v11, v49, v35 dst_sel:DWORD dst_unused:UNUSED_PAD src0_sel:DWORD src1_sel:WORD_1
	;; [unrolled: 1-line block ×7, first 2 shown]
	v_fma_f16 v10, v32, v35, -v10
	v_fma_f16 v11, v34, v35, -v11
	;; [unrolled: 1-line block ×7, first 2 shown]
	v_mul_f16_sdwa v7, v7, v35 dst_sel:DWORD dst_unused:UNUSED_PAD src0_sel:DWORD src1_sel:WORD_1
	v_sub_f16_e32 v28, v21, v10
	v_sub_f16_e32 v30, v22, v11
	;; [unrolled: 1-line block ×7, first 2 shown]
	v_fma_f16 v7, v19, v35, -v7
	v_fma_f16 v29, v21, 2.0, -v28
	v_fma_f16 v31, v22, 2.0, -v30
	;; [unrolled: 1-line block ×7, first 2 shown]
	s_waitcnt lgkmcnt(0)
	; wave barrier
	s_waitcnt lgkmcnt(0)
	ds_read_u16 v17, v1 offset:672
	ds_read_u16 v16, v1 offset:784
	ds_read_u16 v15, v1
	ds_read_u16 v13, v1 offset:112
	ds_read_u16 v12, v1 offset:224
	;; [unrolled: 1-line block ×12, first 2 shown]
	v_sub_f16_e32 v7, v14, v7
	s_waitcnt lgkmcnt(0)
	; wave barrier
	s_waitcnt lgkmcnt(0)
	ds_write_b16 v44, v29
	ds_write_b16 v44, v28 offset:8
	ds_write_b16 v42, v31
	ds_write_b16 v42, v30 offset:8
	;; [unrolled: 2-line block ×7, first 2 shown]
	s_and_saveexec_b64 s[4:5], s[0:1]
	s_cbranch_execz .LBB0_33
; %bb.32:
	s_movk_i32 s0, 0x378
	v_and_or_b32 v18, v18, s0, v20
	v_fma_f16 v14, v14, 2.0, -v7
	v_lshl_add_u32 v18, v18, 1, 0
	ds_write_b16 v18, v14
	ds_write_b16 v18, v7 offset:8
.LBB0_33:
	s_or_b64 exec, exec, s[4:5]
	v_and_b32_e32 v14, 7, v0
	v_lshlrev_b32_e32 v18, 3, v14
	s_waitcnt lgkmcnt(0)
	; wave barrier
	s_waitcnt lgkmcnt(0)
	global_load_dwordx2 v[28:29], v18, s[8:9] offset:24
	ds_read_u16 v18, v1 offset:672
	ds_read_u16 v20, v1 offset:784
	ds_read_u16 v30, v1
	ds_read_u16 v31, v1 offset:112
	ds_read_u16 v32, v1 offset:224
	;; [unrolled: 1-line block ×12, first 2 shown]
	s_mov_b32 s0, 0xbaee
	s_movk_i32 s1, 0x3aee
	s_waitcnt lgkmcnt(0)
	; wave barrier
	s_waitcnt lgkmcnt(0)
	v_lshrrev_b32_e32 v9, 3, v9
	v_lshrrev_b32_e32 v8, 3, v8
	v_mul_u32_u24_e32 v9, 24, v9
	v_mul_u32_u24_e32 v8, 24, v8
	v_or_b32_e32 v9, v9, v14
	v_or_b32_e32 v8, v8, v14
	v_lshl_add_u32 v9, v9, 1, 0
	v_lshl_add_u32 v8, v8, 1, 0
	s_mov_b32 s7, 0xbb9c
	s_movk_i32 s11, 0x3b9c
	s_mov_b32 s6, 0xb8b4
	s_movk_i32 s12, 0x38b4
	s_movk_i32 s10, 0x34f2
	s_waitcnt vmcnt(0)
	v_mul_f16_sdwa v43, v35, v28 dst_sel:DWORD dst_unused:UNUSED_PAD src0_sel:DWORD src1_sel:WORD_1
	v_mul_f16_sdwa v45, v41, v29 dst_sel:DWORD dst_unused:UNUSED_PAD src0_sel:DWORD src1_sel:WORD_1
	;; [unrolled: 1-line block ×15, first 2 shown]
	v_fma_f16 v26, v26, v28, v43
	v_fma_f16 v27, v27, v29, v45
	v_fma_f16 v18, v18, v28, -v48
	v_fma_f16 v37, v37, v29, -v50
	v_mul_f16_sdwa v54, v24, v29 dst_sel:DWORD dst_unused:UNUSED_PAD src0_sel:DWORD src1_sel:WORD_1
	v_mul_f16_sdwa v57, v39, v29 dst_sel:DWORD dst_unused:UNUSED_PAD src0_sel:DWORD src1_sel:WORD_1
	;; [unrolled: 1-line block ×5, first 2 shown]
	v_fma_f16 v35, v35, v28, -v44
	v_fma_f16 v41, v41, v29, -v46
	v_fma_f16 v17, v17, v28, v47
	v_fma_f16 v25, v25, v29, v49
	;; [unrolled: 1-line block ×3, first 2 shown]
	v_fma_f16 v20, v20, v28, -v52
	v_fma_f16 v24, v24, v29, v53
	v_fma_f16 v19, v19, v28, v55
	v_fma_f16 v34, v34, v28, -v56
	v_fma_f16 v23, v23, v28, v59
	v_fma_f16 v28, v42, v28, -v60
	v_add_f16_e32 v42, v26, v27
	v_sub_f16_e32 v47, v18, v37
	v_add_f16_e32 v48, v31, v18
	v_add_f16_e32 v18, v18, v37
	v_fma_f16 v38, v38, v29, -v54
	v_fma_f16 v22, v22, v29, v57
	v_fma_f16 v39, v39, v29, -v58
	v_fma_f16 v21, v21, v29, v61
	v_fma_f16 v29, v40, v29, -v62
	v_add_f16_e32 v40, v15, v26
	v_sub_f16_e32 v43, v35, v41
	v_add_f16_e32 v44, v30, v35
	v_add_f16_e32 v35, v35, v41
	;; [unrolled: 1-line block ×4, first 2 shown]
	v_fma_f16 v15, v42, -0.5, v15
	v_fma_f16 v18, v18, -0.5, v31
	v_sub_f16_e32 v17, v17, v25
	v_add_f16_e32 v42, v16, v24
	v_fma_f16 v30, v35, -0.5, v30
	v_add_f16_e32 v35, v45, v25
	v_fma_f16 v25, v17, s1, v18
	v_fma_f16 v17, v17, s0, v18
	v_add_f16_e32 v18, v12, v16
	v_fma_f16 v12, v42, -0.5, v12
	v_sub_f16_e32 v42, v20, v38
	v_fma_f16 v31, v43, s0, v15
	v_fma_f16 v15, v43, s1, v15
	v_fma_f16 v43, v42, s0, v12
	v_fma_f16 v12, v42, s1, v12
	v_add_f16_e32 v42, v32, v20
	v_add_f16_e32 v20, v20, v38
	v_fma_f16 v20, v20, -0.5, v32
	v_sub_f16_e32 v16, v16, v24
	v_add_f16_e32 v32, v19, v22
	v_add_f16_e32 v18, v18, v24
	v_fma_f16 v24, v16, s1, v20
	v_fma_f16 v16, v16, s0, v20
	v_add_f16_e32 v20, v11, v19
	v_fma_f16 v11, v32, -0.5, v11
	v_sub_f16_e32 v32, v34, v39
	v_add_f16_e32 v42, v42, v38
	v_fma_f16 v38, v32, s0, v11
	v_fma_f16 v11, v32, s1, v11
	v_add_f16_e32 v32, v33, v34
	v_add_f16_e32 v34, v34, v39
	v_fma_f16 v33, v34, -0.5, v33
	v_sub_f16_e32 v19, v19, v22
	v_add_f16_e32 v34, v23, v21
	v_add_f16_e32 v20, v20, v22
	v_fma_f16 v22, v19, s1, v33
	v_fma_f16 v19, v19, s0, v33
	v_add_f16_e32 v33, v10, v23
	v_fma_f16 v10, v34, -0.5, v10
	v_sub_f16_e32 v34, v28, v29
	v_add_f16_e32 v32, v32, v39
	v_fma_f16 v39, v34, s0, v10
	v_fma_f16 v10, v34, s1, v10
	v_add_f16_e32 v34, v36, v28
	v_add_f16_e32 v28, v28, v29
	;; [unrolled: 1-line block ×3, first 2 shown]
	v_fma_f16 v28, v28, -0.5, v36
	v_sub_f16_e32 v21, v23, v21
	v_fma_f16 v23, v21, s1, v28
	v_fma_f16 v21, v21, s0, v28
	v_lshrrev_b32_e32 v28, 3, v0
	v_mul_u32_u24_e32 v28, 24, v28
	v_or_b32_e32 v28, v28, v14
	v_sub_f16_e32 v26, v26, v27
	v_add_f16_e32 v27, v40, v27
	v_lshl_add_u32 v28, v28, 1, 0
	ds_write_b16 v28, v27
	ds_write_b16 v28, v31 offset:16
	ds_write_b16 v28, v15 offset:32
	v_lshrrev_b32_e32 v15, 3, v5
	v_mul_u32_u24_e32 v15, 24, v15
	v_fma_f16 v13, v46, -0.5, v13
	v_or_b32_e32 v15, v15, v14
	v_add_f16_e32 v40, v44, v41
	v_fma_f16 v41, v26, s1, v30
	v_fma_f16 v26, v26, s0, v30
	;; [unrolled: 1-line block ×4, first 2 shown]
	v_lshl_add_u32 v15, v15, 1, 0
	ds_write_b16 v15, v35
	ds_write_b16 v15, v30 offset:16
	ds_write_b16 v15, v13 offset:32
	v_lshrrev_b32_e32 v13, 3, v4
	v_mul_u32_u24_e32 v13, 24, v13
	v_or_b32_e32 v13, v13, v14
	v_lshl_add_u32 v13, v13, 1, 0
	s_movk_i32 s0, 0xab
	v_add_f16_e32 v37, v48, v37
	v_add_f16_e32 v34, v34, v29
	ds_write_b16 v13, v18
	ds_write_b16 v13, v43 offset:16
	ds_write_b16 v13, v12 offset:32
	ds_write_b16 v9, v20
	ds_write_b16 v9, v38 offset:16
	ds_write_b16 v9, v11 offset:32
	;; [unrolled: 3-line block ×3, first 2 shown]
	s_waitcnt lgkmcnt(0)
	; wave barrier
	s_waitcnt lgkmcnt(0)
	ds_read_u16 v12, v1
	ds_read_u16 v29, v1 offset:112
	ds_read_u16 v30, v1 offset:448
	;; [unrolled: 1-line block ×14, first 2 shown]
	s_waitcnt lgkmcnt(0)
	; wave barrier
	s_waitcnt lgkmcnt(0)
	ds_write_b16 v28, v40
	ds_write_b16 v28, v41 offset:16
	ds_write_b16 v28, v26 offset:32
	ds_write_b16 v15, v37
	ds_write_b16 v15, v25 offset:16
	ds_write_b16 v15, v17 offset:32
	;; [unrolled: 3-line block ×5, first 2 shown]
	v_mul_lo_u16_sdwa v8, v0, s0 dst_sel:DWORD dst_unused:UNUSED_PAD src0_sel:BYTE_0 src1_sel:DWORD
	v_lshrrev_b16_e32 v13, 12, v8
	v_mul_lo_u16_e32 v8, 24, v13
	v_sub_u16_e32 v15, v0, v8
	v_mov_b32_e32 v14, 4
	v_lshlrev_b32_sdwa v8, v14, v15 dst_sel:DWORD dst_unused:UNUSED_PAD src0_sel:DWORD src1_sel:BYTE_0
	s_waitcnt lgkmcnt(0)
	; wave barrier
	s_waitcnt lgkmcnt(0)
	global_load_dwordx4 v[8:11], v8, s[8:9] offset:88
	v_mul_lo_u16_sdwa v16, v5, s0 dst_sel:DWORD dst_unused:UNUSED_PAD src0_sel:BYTE_0 src1_sel:DWORD
	v_lshrrev_b16_e32 v16, 12, v16
	v_mul_lo_u16_e32 v17, 24, v16
	v_sub_u16_e32 v17, v5, v17
	v_lshlrev_b32_sdwa v18, v14, v17 dst_sel:DWORD dst_unused:UNUSED_PAD src0_sel:DWORD src1_sel:BYTE_0
	global_load_dwordx4 v[19:22], v18, s[8:9] offset:88
	v_mul_lo_u16_sdwa v18, v4, s0 dst_sel:DWORD dst_unused:UNUSED_PAD src0_sel:BYTE_0 src1_sel:DWORD
	v_lshrrev_b16_e32 v28, 12, v18
	v_mul_lo_u16_e32 v18, 24, v28
	v_sub_u16_e32 v32, v4, v18
	v_lshlrev_b32_sdwa v14, v14, v32 dst_sel:DWORD dst_unused:UNUSED_PAD src0_sel:DWORD src1_sel:BYTE_0
	global_load_dwordx4 v[24:27], v14, s[8:9] offset:88
	ds_read_u16 v23, v1
	ds_read_u16 v14, v1 offset:112
	ds_read_u16 v34, v1 offset:448
	;; [unrolled: 1-line block ×14, first 2 shown]
	v_mul_u32_u24_e32 v13, 0xf0, v13
	s_waitcnt lgkmcnt(0)
	; wave barrier
	s_waitcnt lgkmcnt(0)
	v_cmp_gt_u32_e64 s[0:1], 8, v0
	s_waitcnt vmcnt(2)
	v_mul_f16_sdwa v46, v42, v8 dst_sel:DWORD dst_unused:UNUSED_PAD src0_sel:DWORD src1_sel:WORD_1
	v_fma_f16 v50, v36, v8, v46
	v_mul_f16_sdwa v36, v36, v8 dst_sel:DWORD dst_unused:UNUSED_PAD src0_sel:DWORD src1_sel:WORD_1
	v_fma_f16 v42, v42, v8, -v36
	v_mul_f16_sdwa v8, v41, v9 dst_sel:DWORD dst_unused:UNUSED_PAD src0_sel:DWORD src1_sel:WORD_1
	v_fma_f16 v52, v35, v9, v8
	v_mul_f16_sdwa v8, v35, v9 dst_sel:DWORD dst_unused:UNUSED_PAD src0_sel:DWORD src1_sel:WORD_1
	v_fma_f16 v46, v41, v9, -v8
	v_mul_f16_sdwa v8, v45, v10 dst_sel:DWORD dst_unused:UNUSED_PAD src0_sel:DWORD src1_sel:WORD_1
	v_fma_f16 v53, v39, v10, v8
	v_mul_f16_sdwa v8, v39, v10 dst_sel:DWORD dst_unused:UNUSED_PAD src0_sel:DWORD src1_sel:WORD_1
	v_fma_f16 v47, v45, v10, -v8
	v_mul_f16_sdwa v8, v43, v11 dst_sel:DWORD dst_unused:UNUSED_PAD src0_sel:DWORD src1_sel:WORD_1
	v_fma_f16 v54, v38, v11, v8
	v_mul_f16_sdwa v8, v38, v11 dst_sel:DWORD dst_unused:UNUSED_PAD src0_sel:DWORD src1_sel:WORD_1
	v_fma_f16 v49, v43, v11, -v8
	s_waitcnt vmcnt(1)
	v_mul_f16_sdwa v8, v34, v19 dst_sel:DWORD dst_unused:UNUSED_PAD src0_sel:DWORD src1_sel:WORD_1
	v_fma_f16 v43, v30, v19, v8
	v_mul_f16_sdwa v8, v30, v19 dst_sel:DWORD dst_unused:UNUSED_PAD src0_sel:DWORD src1_sel:WORD_1
	v_fma_f16 v35, v34, v19, -v8
	v_mul_f16_sdwa v8, v37, v20 dst_sel:DWORD dst_unused:UNUSED_PAD src0_sel:DWORD src1_sel:WORD_1
	v_fma_f16 v45, v31, v20, v8
	v_mul_f16_sdwa v8, v31, v20 dst_sel:DWORD dst_unused:UNUSED_PAD src0_sel:DWORD src1_sel:WORD_1
	v_fma_f16 v38, v37, v20, -v8
	v_mul_f16_sdwa v8, v40, v21 dst_sel:DWORD dst_unused:UNUSED_PAD src0_sel:DWORD src1_sel:WORD_1
	v_fma_f16 v48, v33, v21, v8
	v_mul_f16_sdwa v8, v33, v21 dst_sel:DWORD dst_unused:UNUSED_PAD src0_sel:DWORD src1_sel:WORD_1
	v_fma_f16 v39, v40, v21, -v8
	v_mul_f16_sdwa v8, v61, v22 dst_sel:DWORD dst_unused:UNUSED_PAD src0_sel:DWORD src1_sel:WORD_1
	v_fma_f16 v51, v56, v22, v8
	v_mul_f16_sdwa v8, v56, v22 dst_sel:DWORD dst_unused:UNUSED_PAD src0_sel:DWORD src1_sel:WORD_1
	v_fma_f16 v41, v61, v22, -v8
	;; [unrolled: 17-line block ×3, first 2 shown]
	v_add_f16_e32 v8, v12, v50
	v_add_f16_e32 v8, v8, v52
	;; [unrolled: 1-line block ×5, first 2 shown]
	v_fma_f16 v8, v8, -0.5, v12
	v_sub_f16_e32 v10, v42, v49
	v_fma_f16 v11, v10, s7, v8
	v_sub_f16_e32 v22, v46, v47
	v_sub_f16_e32 v24, v50, v52
	;; [unrolled: 1-line block ×3, first 2 shown]
	v_fma_f16 v8, v10, s11, v8
	v_fma_f16 v11, v22, s6, v11
	v_add_f16_e32 v24, v24, v25
	v_fma_f16 v8, v22, s12, v8
	v_fma_f16 v11, v24, s10, v11
	;; [unrolled: 1-line block ×3, first 2 shown]
	v_add_f16_e32 v8, v50, v54
	v_fma_f16 v8, v8, -0.5, v12
	v_fma_f16 v12, v22, s11, v8
	v_sub_f16_e32 v25, v52, v50
	v_sub_f16_e32 v26, v53, v54
	v_fma_f16 v8, v22, s7, v8
	v_add_f16_e32 v25, v25, v26
	v_fma_f16 v8, v10, s12, v8
	v_fma_f16 v12, v10, s6, v12
	;; [unrolled: 1-line block ×3, first 2 shown]
	v_add_f16_e32 v8, v29, v43
	v_add_f16_e32 v8, v8, v45
	;; [unrolled: 1-line block ×5, first 2 shown]
	v_fma_f16 v12, v25, s10, v12
	v_fma_f16 v8, v8, -0.5, v29
	v_sub_f16_e32 v25, v35, v41
	v_fma_f16 v26, v25, s7, v8
	v_sub_f16_e32 v27, v38, v39
	v_sub_f16_e32 v30, v43, v45
	;; [unrolled: 1-line block ×3, first 2 shown]
	v_fma_f16 v8, v25, s11, v8
	v_fma_f16 v26, v27, s6, v26
	v_add_f16_e32 v30, v30, v31
	v_fma_f16 v8, v27, s12, v8
	v_fma_f16 v26, v30, s10, v26
	;; [unrolled: 1-line block ×3, first 2 shown]
	v_add_f16_e32 v8, v43, v51
	v_fma_f16 v8, v8, -0.5, v29
	v_fma_f16 v29, v27, s11, v8
	v_sub_f16_e32 v31, v45, v43
	v_sub_f16_e32 v33, v48, v51
	v_fma_f16 v8, v27, s7, v8
	v_add_f16_e32 v31, v31, v33
	v_fma_f16 v8, v25, s12, v8
	v_fma_f16 v29, v25, s6, v29
	;; [unrolled: 1-line block ×3, first 2 shown]
	v_add_f16_e32 v8, v55, v36
	v_add_f16_e32 v8, v8, v37
	;; [unrolled: 1-line block ×5, first 2 shown]
	v_fma_f16 v29, v31, s10, v29
	v_fma_f16 v8, v8, -0.5, v55
	v_sub_f16_e32 v31, v19, v34
	v_fma_f16 v33, v31, s7, v8
	v_sub_f16_e32 v56, v20, v21
	v_sub_f16_e32 v57, v36, v37
	v_sub_f16_e32 v58, v44, v40
	v_fma_f16 v8, v31, s11, v8
	v_fma_f16 v33, v56, s6, v33
	v_add_f16_e32 v57, v57, v58
	v_fma_f16 v8, v56, s12, v8
	v_fma_f16 v33, v57, s10, v33
	;; [unrolled: 1-line block ×3, first 2 shown]
	v_add_f16_e32 v57, v36, v44
	v_fma_f16 v55, v57, -0.5, v55
	v_fma_f16 v57, v56, s11, v55
	v_sub_f16_e32 v58, v37, v36
	v_sub_f16_e32 v59, v40, v44
	v_fma_f16 v57, v31, s6, v57
	v_add_f16_e32 v58, v58, v59
	v_fma_f16 v59, v58, s10, v57
	v_mov_b32_e32 v57, 1
	v_fma_f16 v55, v56, s7, v55
	v_lshlrev_b32_sdwa v15, v57, v15 dst_sel:DWORD dst_unused:UNUSED_PAD src0_sel:DWORD src1_sel:BYTE_0
	v_fma_f16 v31, v31, s12, v55
	v_add3_u32 v55, 0, v13, v15
	ds_write_b16 v55, v9
	ds_write_b16 v55, v11 offset:48
	ds_write_b16 v55, v12 offset:96
	;; [unrolled: 1-line block ×4, first 2 shown]
	v_mul_u32_u24_e32 v9, 0xf0, v16
	v_lshlrev_b32_sdwa v10, v57, v17 dst_sel:DWORD dst_unused:UNUSED_PAD src0_sel:DWORD src1_sel:BYTE_0
	v_add3_u32 v56, 0, v9, v10
	v_mul_u32_u24_e32 v9, 0xf0, v28
	v_lshlrev_b32_sdwa v10, v57, v32 dst_sel:DWORD dst_unused:UNUSED_PAD src0_sel:DWORD src1_sel:BYTE_0
	v_fma_f16 v31, v58, s10, v31
	v_add3_u32 v57, 0, v9, v10
	ds_write_b16 v56, v22
	ds_write_b16 v56, v26 offset:48
	ds_write_b16 v56, v29 offset:96
	;; [unrolled: 1-line block ×4, first 2 shown]
	ds_write_b16 v57, v27
	ds_write_b16 v57, v33 offset:48
	ds_write_b16 v57, v59 offset:96
	;; [unrolled: 1-line block ×4, first 2 shown]
	s_waitcnt lgkmcnt(0)
	; wave barrier
	s_waitcnt lgkmcnt(0)
	ds_read_u16 v15, v1
	ds_read_u16 v16, v1 offset:960
	ds_read_u16 v28, v1 offset:832
	ds_read_u16 v22, v1 offset:720
	ds_read_u16 v29, v1 offset:592
	ds_read_u16 v17, v1 offset:480
	ds_read_u16 v30, v1 offset:352
	ds_read_u16 v25, v1 offset:240
	ds_read_u16 v27, v1 offset:112
	ds_read_u16 v32, v1 offset:1552
	ds_read_u16 v26, v1 offset:1440
	ds_read_u16 v31, v1 offset:1312
	ds_read_u16 v24, v1 offset:1200
	ds_read_u16 v33, v1 offset:1072
                                        ; implicit-def: $vgpr11
                                        ; implicit-def: $vgpr10
                                        ; implicit-def: $vgpr9
                                        ; implicit-def: $vgpr12
                                        ; implicit-def: $vgpr13
	s_and_saveexec_b64 s[4:5], s[0:1]
	s_cbranch_execz .LBB0_35
; %bb.34:
	ds_read_u16 v8, v1 offset:224
	ds_read_u16 v6, v1 offset:464
	;; [unrolled: 1-line block ×7, first 2 shown]
.LBB0_35:
	s_or_b64 exec, exec, s[4:5]
	v_add_f16_e32 v59, v46, v47
	v_fma_f16 v59, v59, -0.5, v23
	v_sub_f16_e32 v50, v50, v54
	v_fma_f16 v54, v50, s11, v59
	v_sub_f16_e32 v52, v52, v53
	v_add_f16_e32 v58, v23, v42
	v_fma_f16 v53, v52, s12, v54
	v_sub_f16_e32 v54, v42, v46
	v_sub_f16_e32 v60, v49, v47
	v_fma_f16 v59, v50, s7, v59
	v_add_f16_e32 v58, v58, v46
	v_add_f16_e32 v54, v54, v60
	v_fma_f16 v59, v52, s6, v59
	v_add_f16_e32 v58, v58, v47
	v_fma_f16 v53, v54, s10, v53
	v_fma_f16 v54, v54, s10, v59
	v_add_f16_e32 v59, v42, v49
	v_sub_f16_e32 v42, v46, v42
	v_sub_f16_e32 v46, v47, v49
	v_add_f16_e32 v47, v38, v39
	v_fma_f16 v23, v59, -0.5, v23
	v_fma_f16 v47, v47, -0.5, v14
	v_sub_f16_e32 v43, v43, v51
	v_add_f16_e32 v58, v58, v49
	v_fma_f16 v59, v52, s7, v23
	v_fma_f16 v23, v52, s11, v23
	;; [unrolled: 1-line block ×3, first 2 shown]
	v_sub_f16_e32 v45, v45, v48
	v_fma_f16 v59, v50, s12, v59
	v_fma_f16 v23, v50, s6, v23
	;; [unrolled: 1-line block ×3, first 2 shown]
	v_sub_f16_e32 v49, v35, v38
	v_sub_f16_e32 v50, v41, v39
	v_fma_f16 v47, v43, s7, v47
	v_add_f16_e32 v49, v49, v50
	v_fma_f16 v47, v45, s6, v47
	v_add_f16_e32 v42, v42, v46
	v_fma_f16 v48, v49, s10, v48
	v_fma_f16 v47, v49, s10, v47
	v_add_f16_e32 v49, v35, v41
	v_fma_f16 v46, v42, s10, v59
	v_fma_f16 v23, v42, s10, v23
	v_add_f16_e32 v42, v14, v35
	v_fma_f16 v14, v49, -0.5, v14
	v_add_f16_e32 v42, v42, v38
	v_fma_f16 v49, v45, s7, v14
	v_sub_f16_e32 v35, v38, v35
	v_sub_f16_e32 v38, v39, v41
	v_fma_f16 v14, v45, s11, v14
	v_fma_f16 v49, v43, s12, v49
	v_add_f16_e32 v35, v35, v38
	v_fma_f16 v14, v43, s6, v14
	v_fma_f16 v38, v35, s10, v49
	;; [unrolled: 1-line block ×3, first 2 shown]
	v_add_f16_e32 v14, v18, v19
	v_add_f16_e32 v14, v14, v20
	;; [unrolled: 1-line block ×6, first 2 shown]
	v_fma_f16 v14, v14, -0.5, v18
	v_sub_f16_e32 v36, v36, v44
	v_add_f16_e32 v42, v42, v41
	v_fma_f16 v41, v36, s11, v14
	v_sub_f16_e32 v37, v37, v40
	v_fma_f16 v40, v37, s12, v41
	v_sub_f16_e32 v41, v19, v20
	v_sub_f16_e32 v43, v34, v21
	v_fma_f16 v14, v36, s7, v14
	v_add_f16_e32 v41, v41, v43
	v_fma_f16 v14, v37, s6, v14
	v_fma_f16 v40, v41, s10, v40
	;; [unrolled: 1-line block ×3, first 2 shown]
	v_add_f16_e32 v41, v19, v34
	v_fma_f16 v18, v41, -0.5, v18
	v_fma_f16 v41, v37, s7, v18
	v_sub_f16_e32 v19, v20, v19
	v_sub_f16_e32 v20, v21, v34
	v_fma_f16 v18, v37, s11, v18
	v_fma_f16 v41, v36, s12, v41
	v_add_f16_e32 v19, v19, v20
	v_fma_f16 v18, v36, s6, v18
	v_fma_f16 v20, v19, s10, v41
	;; [unrolled: 1-line block ×3, first 2 shown]
	s_waitcnt lgkmcnt(0)
	; wave barrier
	s_waitcnt lgkmcnt(0)
	ds_write_b16 v55, v58
	ds_write_b16 v55, v53 offset:48
	ds_write_b16 v55, v46 offset:96
	ds_write_b16 v55, v23 offset:144
	ds_write_b16 v55, v54 offset:192
	ds_write_b16 v56, v42
	ds_write_b16 v56, v48 offset:48
	ds_write_b16 v56, v38 offset:96
	ds_write_b16 v56, v35 offset:144
	ds_write_b16 v56, v47 offset:192
	;; [unrolled: 5-line block ×3, first 2 shown]
	s_waitcnt lgkmcnt(0)
	; wave barrier
	s_waitcnt lgkmcnt(0)
	ds_read_u16 v34, v1
	ds_read_u16 v35, v1 offset:960
	ds_read_u16 v43, v1 offset:832
	;; [unrolled: 1-line block ×13, first 2 shown]
                                        ; implicit-def: $vgpr20
                                        ; implicit-def: $vgpr19
                                        ; implicit-def: $vgpr18
                                        ; implicit-def: $vgpr21
                                        ; implicit-def: $vgpr23
	s_and_saveexec_b64 s[4:5], s[0:1]
	s_cbranch_execz .LBB0_37
; %bb.36:
	ds_read_u16 v14, v1 offset:224
	ds_read_u16 v7, v1 offset:464
	;; [unrolled: 1-line block ×7, first 2 shown]
.LBB0_37:
	s_or_b64 exec, exec, s[4:5]
	s_and_saveexec_b64 s[4:5], vcc
	s_cbranch_execz .LBB0_40
; %bb.38:
	v_mul_u32_u24_e32 v1, 6, v5
	v_lshlrev_b32_e32 v1, 2, v1
	global_load_dwordx4 v[48:51], v1, s[8:9] offset:472
	global_load_dwordx2 v[56:57], v1, s[8:9] offset:488
	v_mul_u32_u24_e32 v1, 6, v0
	v_lshlrev_b32_e32 v1, 2, v1
	global_load_dwordx4 v[52:55], v1, s[8:9] offset:472
	global_load_dwordx2 v[58:59], v1, s[8:9] offset:488
	s_mov_b32 s5, 0xb574
	s_movk_i32 s14, 0x3a52
	s_mov_b32 s6, 0xbcab
	s_mov_b32 s10, 0xbb00
	s_movk_i32 s11, 0x3574
	s_mov_b32 s12, 0xb9e0
	s_movk_i32 s13, 0x39e0
	;; [unrolled: 2-line block ×3, first 2 shown]
	s_waitcnt vmcnt(3) lgkmcnt(7)
	v_mul_f16_sdwa v1, v44, v48 dst_sel:DWORD dst_unused:UNUSED_PAD src0_sel:DWORD src1_sel:WORD_1
	s_waitcnt vmcnt(2) lgkmcnt(4)
	v_mul_f16_sdwa v60, v46, v57 dst_sel:DWORD dst_unused:UNUSED_PAD src0_sel:DWORD src1_sel:WORD_1
	s_waitcnt lgkmcnt(0)
	v_mul_f16_sdwa v61, v47, v51 dst_sel:DWORD dst_unused:UNUSED_PAD src0_sel:DWORD src1_sel:WORD_1
	v_mul_f16_sdwa v62, v43, v50 dst_sel:DWORD dst_unused:UNUSED_PAD src0_sel:DWORD src1_sel:WORD_1
	;; [unrolled: 1-line block ×10, first 2 shown]
	v_fma_f16 v1, v30, v48, v1
	v_fma_f16 v30, v32, v57, v60
	;; [unrolled: 1-line block ×6, first 2 shown]
	v_fma_f16 v33, v46, v57, -v65
	v_fma_f16 v44, v44, v48, -v66
	v_fma_f16 v43, v43, v50, -v67
	v_fma_f16 v46, v47, v51, -v68
	v_fma_f16 v45, v45, v56, -v69
	v_fma_f16 v42, v42, v49, -v70
	v_sub_f16_e32 v47, v1, v30
	v_sub_f16_e32 v48, v32, v28
	;; [unrolled: 1-line block ×3, first 2 shown]
	v_add_f16_e32 v50, v44, v33
	v_add_f16_e32 v56, v42, v45
	;; [unrolled: 1-line block ×5, first 2 shown]
	v_sub_f16_e32 v30, v44, v33
	v_sub_f16_e32 v31, v46, v43
	;; [unrolled: 1-line block ×3, first 2 shown]
	v_add_f16_e32 v51, v46, v43
	v_add_f16_e32 v46, v50, v56
	;; [unrolled: 1-line block ×3, first 2 shown]
	v_sub_f16_e32 v61, v30, v31
	v_sub_f16_e32 v62, v31, v32
	v_add_f16_e32 v31, v31, v32
	v_sub_f16_e32 v33, v47, v48
	v_sub_f16_e32 v42, v48, v49
	v_add_f16_e32 v43, v48, v49
	v_sub_f16_e32 v45, v51, v56
	v_sub_f16_e32 v48, v1, v28
	;; [unrolled: 1-line block ×3, first 2 shown]
	v_add_f16_e32 v46, v51, v46
	v_add_f16_e32 v28, v28, v60
	v_add_f16_e32 v31, v30, v31
	v_sub_f16_e32 v30, v32, v30
	v_sub_f16_e32 v44, v50, v51
	;; [unrolled: 1-line block ×3, first 2 shown]
	v_mul_f16_e32 v42, 0x3846, v42
	v_mul_f16_e32 v45, 0x2b26, v45
	;; [unrolled: 1-line block ×5, first 2 shown]
	v_add_f16_e32 v41, v41, v46
	v_add_f16_e32 v27, v27, v28
	v_sub_f16_e32 v1, v29, v1
	v_mul_f16_e32 v32, 0xbb00, v30
	v_add_f16_e32 v43, v47, v43
	v_mul_f16_e32 v47, 0x3a52, v44
	v_mul_f16_e32 v62, 0xbb00, v49
	v_fma_f16 v63, v33, s5, v42
	v_fma_f16 v44, v44, s14, v45
	;; [unrolled: 1-line block ×4, first 2 shown]
	v_sub_f16_e32 v50, v56, v50
	v_fma_f16 v29, v1, s12, -v51
	v_fma_f16 v32, v61, s11, -v32
	v_fma_f16 v30, v30, s10, -v60
	v_fma_f16 v1, v1, s13, -v57
	v_fma_f16 v48, v48, s14, v57
	v_fma_f16 v64, v61, s5, v60
	v_fma_f16 v33, v33, s11, -v62
	v_fma_f16 v62, v43, s4, v63
	v_add_f16_e32 v44, v44, v46
	v_fma_f16 v47, v50, s12, -v47
	v_add_f16_e32 v29, v29, v28
	v_fma_f16 v32, v31, s4, v32
	v_fma_f16 v30, v31, s4, v30
	v_add_f16_e32 v1, v1, v28
	v_fma_f16 v63, v31, s4, v64
	v_fma_f16 v33, v43, s4, v33
	v_add_f16_e32 v48, v48, v28
	v_add_f16_e32 v64, v62, v44
	;; [unrolled: 1-line block ×3, first 2 shown]
	v_sub_f16_e32 v51, v29, v32
	v_fma_f16 v45, v50, s13, -v45
	v_add_f16_e32 v28, v30, v1
	v_sub_f16_e32 v30, v1, v30
	v_add_f16_e32 v29, v32, v29
	v_sub_f16_e32 v32, v44, v62
	s_waitcnt vmcnt(1)
	v_mul_f16_sdwa v1, v39, v52 dst_sel:DWORD dst_unused:UNUSED_PAD src0_sel:DWORD src1_sel:WORD_1
	s_waitcnt vmcnt(0)
	v_mul_f16_sdwa v44, v40, v59 dst_sel:DWORD dst_unused:UNUSED_PAD src0_sel:DWORD src1_sel:WORD_1
	v_mul_f16_sdwa v50, v36, v53 dst_sel:DWORD dst_unused:UNUSED_PAD src0_sel:DWORD src1_sel:WORD_1
	;; [unrolled: 1-line block ×3, first 2 shown]
	v_add_f16_e32 v56, v33, v47
	v_add_f16_e32 v45, v45, v46
	v_sub_f16_e32 v33, v47, v33
	v_fma_f16 v1, v25, v52, v1
	v_fma_f16 v44, v26, v59, v44
	v_mul_f16_sdwa v46, v35, v55 dst_sel:DWORD dst_unused:UNUSED_PAD src0_sel:DWORD src1_sel:WORD_1
	v_mul_f16_sdwa v47, v37, v54 dst_sel:DWORD dst_unused:UNUSED_PAD src0_sel:DWORD src1_sel:WORD_1
	v_fma_f16 v50, v17, v53, v50
	v_fma_f16 v57, v24, v58, v57
	v_mul_f16_sdwa v26, v26, v59 dst_sel:DWORD dst_unused:UNUSED_PAD src0_sel:DWORD src1_sel:WORD_1
	v_mul_f16_sdwa v25, v25, v52 dst_sel:DWORD dst_unused:UNUSED_PAD src0_sel:DWORD src1_sel:WORD_1
	v_mul_f16_sdwa v24, v24, v58 dst_sel:DWORD dst_unused:UNUSED_PAD src0_sel:DWORD src1_sel:WORD_1
	v_mul_f16_sdwa v17, v17, v53 dst_sel:DWORD dst_unused:UNUSED_PAD src0_sel:DWORD src1_sel:WORD_1
	v_fma_f16 v42, v49, s10, -v42
	v_fma_f16 v46, v16, v55, v46
	v_fma_f16 v47, v22, v54, v47
	v_fma_f16 v26, v40, v59, -v26
	v_fma_f16 v25, v39, v52, -v25
	v_mul_f16_sdwa v22, v22, v54 dst_sel:DWORD dst_unused:UNUSED_PAD src0_sel:DWORD src1_sel:WORD_1
	v_mul_f16_sdwa v16, v16, v55 dst_sel:DWORD dst_unused:UNUSED_PAD src0_sel:DWORD src1_sel:WORD_1
	v_fma_f16 v24, v38, v58, -v24
	v_fma_f16 v17, v36, v53, -v17
	v_fma_f16 v42, v43, s4, v42
	v_add_f16_e32 v39, v25, v26
	v_fma_f16 v22, v37, v54, -v22
	v_fma_f16 v16, v35, v55, -v16
	v_add_f16_e32 v36, v17, v24
	v_sub_f16_e32 v65, v48, v63
	v_sub_f16_e32 v43, v45, v42
	v_add_f16_e32 v31, v42, v45
	v_add_f16_e32 v42, v63, v48
	v_sub_f16_e32 v45, v1, v44
	v_sub_f16_e32 v48, v46, v47
	;; [unrolled: 1-line block ×3, first 2 shown]
	v_add_f16_e32 v35, v16, v22
	v_add_f16_e32 v52, v39, v36
	;; [unrolled: 1-line block ×4, first 2 shown]
	v_sub_f16_e32 v49, v45, v48
	v_sub_f16_e32 v61, v48, v60
	v_add_f16_e32 v48, v48, v60
	v_sub_f16_e32 v37, v39, v35
	v_sub_f16_e32 v38, v35, v36
	v_add_f16_e32 v35, v35, v52
	v_add_f16_e32 v44, v46, v47
	;; [unrolled: 1-line block ×3, first 2 shown]
	v_sub_f16_e32 v25, v25, v26
	v_sub_f16_e32 v16, v16, v22
	;; [unrolled: 1-line block ×3, first 2 shown]
	v_add_f16_e32 v48, v45, v48
	v_mul_f16_e32 v40, 0x3a52, v37
	v_mul_f16_e32 v38, 0x2b26, v38
	v_add_f16_e32 v34, v34, v35
	v_sub_f16_e32 v46, v1, v44
	v_sub_f16_e32 v53, v44, v50
	v_add_f16_e32 v44, v44, v54
	v_sub_f16_e32 v22, v25, v16
	v_sub_f16_e32 v24, v16, v17
	;; [unrolled: 3-line block ×3, first 2 shown]
	v_sub_f16_e32 v17, v17, v25
	v_mul_f16_e32 v61, 0x3846, v61
	v_fma_f16 v37, v37, s14, v38
	v_fma_f16 v35, v35, s6, v34
	v_mul_f16_e32 v47, 0x3a52, v46
	v_mul_f16_e32 v53, 0x2b26, v53
	v_add_f16_e32 v15, v15, v44
	v_mul_f16_e32 v24, 0x3846, v24
	v_add_f16_e32 v16, v25, v16
	v_mul_f16_e32 v55, 0xbb00, v45
	v_fma_f16 v39, v36, s12, -v40
	v_sub_f16_e32 v1, v50, v1
	v_mul_f16_e32 v25, 0xbb00, v17
	v_fma_f16 v36, v36, s13, -v38
	v_fma_f16 v62, v49, s5, v61
	v_add_f16_e32 v37, v37, v35
	v_fma_f16 v44, v44, s6, v15
	v_fma_f16 v26, v22, s5, v24
	v_fma_f16 v49, v49, s11, -v55
	v_add_f16_e32 v39, v39, v35
	v_fma_f16 v47, v1, s12, -v47
	v_fma_f16 v22, v22, s11, -v25
	v_add_f16_e32 v35, v36, v35
	v_fma_f16 v36, v45, s10, -v61
	v_fma_f16 v17, v17, s10, -v24
	;; [unrolled: 1-line block ×3, first 2 shown]
	v_fma_f16 v62, v48, s4, v62
	v_fma_f16 v26, v16, s4, v26
	;; [unrolled: 1-line block ×6, first 2 shown]
	v_add_f16_e32 v1, v1, v44
	v_add_f16_e32 v52, v62, v37
	;; [unrolled: 1-line block ×3, first 2 shown]
	v_sub_f16_e32 v38, v35, v36
	v_add_f16_e32 v17, v16, v1
	v_add_f16_e32 v24, v36, v35
	v_sub_f16_e32 v16, v1, v16
	v_sub_f16_e32 v35, v39, v49
	;; [unrolled: 1-line block ×3, first 2 shown]
	v_mov_b32_e32 v1, 0
	v_mov_b32_e32 v37, s3
	v_add_co_u32_e32 v39, vcc, s2, v2
	v_addc_co_u32_e32 v37, vcc, v37, v3, vcc
	v_lshlrev_b64 v[2:3], 2, v[0:1]
	v_fma_f16 v46, v46, s14, v53
	v_add_f16_e32 v46, v46, v44
	v_add_co_u32_e32 v2, vcc, v39, v2
	v_sub_f16_e32 v54, v46, v26
	v_add_f16_e32 v47, v47, v44
	v_add_f16_e32 v26, v26, v46
	v_addc_co_u32_e32 v3, vcc, v37, v3, vcc
	v_pack_b32_f16 v15, v15, v34
	v_sub_f16_e32 v25, v47, v22
	v_add_f16_e32 v22, v22, v47
	global_store_dword v[2:3], v15, off
	v_pack_b32_f16 v15, v26, v36
	s_mov_b32 s2, 0x88888889
	global_store_dword v[2:3], v15, off offset:480
	v_pack_b32_f16 v15, v22, v35
	v_mul_hi_u32 v5, v5, s2
	global_store_dword v[2:3], v15, off offset:960
	v_pack_b32_f16 v15, v16, v24
	global_store_dword v[2:3], v15, off offset:1440
	v_pack_b32_f16 v15, v17, v38
	global_store_dword v[2:3], v15, off offset:1920
	v_pack_b32_f16 v15, v25, v40
	global_store_dword v[2:3], v15, off offset:2400
	v_pack_b32_f16 v15, v54, v52
	v_lshrrev_b32_e32 v5, 6, v5
	global_store_dword v[2:3], v15, off offset:2880
	v_mul_u32_u24_e32 v15, 0x2d0, v5
	v_mov_b32_e32 v16, v1
	v_lshlrev_b64 v[15:16], 2, v[15:16]
	v_pack_b32_f16 v5, v27, v41
	v_add_co_u32_e32 v15, vcc, v2, v15
	v_addc_co_u32_e32 v16, vcc, v3, v16, vcc
	global_store_dword v[15:16], v5, off offset:224
	v_pack_b32_f16 v5, v42, v32
	global_store_dword v[15:16], v5, off offset:704
	v_pack_b32_f16 v5, v29, v33
	;; [unrolled: 2-line block ×6, first 2 shown]
	global_store_dword v[15:16], v5, off offset:3104
	s_and_b64 exec, exec, s[0:1]
	s_cbranch_execz .LBB0_40
; %bb.39:
	v_add_u32_e32 v0, -8, v0
	v_cndmask_b32_e64 v0, v0, v4, s[0:1]
	v_mul_i32_i24_e32 v0, 6, v0
	v_lshlrev_b64 v[0:1], 2, v[0:1]
	v_mov_b32_e32 v4, s9
	v_add_co_u32_e32 v0, vcc, s8, v0
	v_addc_co_u32_e32 v1, vcc, v4, v1, vcc
	global_load_dwordx4 v[24:27], v[0:1], off offset:472
	global_load_dwordx2 v[4:5], v[0:1], off offset:488
	s_waitcnt vmcnt(1)
	v_mul_f16_sdwa v0, v7, v24 dst_sel:DWORD dst_unused:UNUSED_PAD src0_sel:DWORD src1_sel:WORD_1
	v_mul_f16_sdwa v1, v6, v24 dst_sel:DWORD dst_unused:UNUSED_PAD src0_sel:DWORD src1_sel:WORD_1
	;; [unrolled: 1-line block ×4, first 2 shown]
	s_waitcnt vmcnt(0)
	v_mul_f16_sdwa v30, v21, v4 dst_sel:DWORD dst_unused:UNUSED_PAD src0_sel:DWORD src1_sel:WORD_1
	v_mul_f16_sdwa v31, v12, v4 dst_sel:DWORD dst_unused:UNUSED_PAD src0_sel:DWORD src1_sel:WORD_1
	;; [unrolled: 1-line block ×8, first 2 shown]
	v_fma_f16 v0, v6, v24, v0
	v_fma_f16 v1, v7, v24, -v1
	v_fma_f16 v6, v11, v25, v15
	v_fma_f16 v7, v20, v25, -v16
	;; [unrolled: 2-line block ×6, first 2 shown]
	v_add_f16_e32 v16, v0, v9
	v_add_f16_e32 v17, v1, v5
	v_sub_f16_e32 v0, v0, v9
	v_sub_f16_e32 v1, v1, v5
	v_add_f16_e32 v5, v6, v12
	v_add_f16_e32 v9, v7, v4
	v_sub_f16_e32 v6, v6, v12
	v_sub_f16_e32 v4, v7, v4
	;; [unrolled: 4-line block ×4, first 2 shown]
	v_sub_f16_e32 v16, v16, v7
	v_sub_f16_e32 v17, v17, v12
	;; [unrolled: 1-line block ×4, first 2 shown]
	v_add_f16_e32 v20, v10, v6
	v_add_f16_e32 v21, v11, v4
	v_sub_f16_e32 v22, v10, v6
	v_sub_f16_e32 v23, v11, v4
	v_add_f16_e32 v7, v7, v13
	v_add_f16_e32 v12, v12, v15
	v_sub_f16_e32 v10, v0, v10
	v_sub_f16_e32 v11, v1, v11
	;; [unrolled: 1-line block ×4, first 2 shown]
	v_add_f16_e32 v0, v20, v0
	v_add_f16_e32 v1, v21, v1
	v_mul_f16_e32 v13, 0x3a52, v16
	v_mul_f16_e32 v15, 0x3a52, v17
	;; [unrolled: 1-line block ×6, first 2 shown]
	v_add_f16_e32 v8, v8, v7
	v_add_f16_e32 v14, v14, v12
	v_mul_f16_e32 v22, 0xbb00, v6
	v_mul_f16_e32 v23, 0xbb00, v4
	v_fma_f16 v5, v5, s7, v13
	v_fma_f16 v9, v9, s7, v15
	v_fma_f16 v16, v18, s13, -v16
	v_fma_f16 v17, v19, s13, -v17
	;; [unrolled: 1-line block ×4, first 2 shown]
	v_fma_f16 v18, v10, s5, v20
	v_fma_f16 v19, v11, s5, v21
	;; [unrolled: 1-line block ×4, first 2 shown]
	v_fma_f16 v6, v6, s10, -v20
	v_fma_f16 v4, v4, s10, -v21
	v_fma_f16 v10, v10, s11, -v22
	v_fma_f16 v11, v11, s11, -v23
	v_add_f16_e32 v5, v5, v7
	v_add_f16_e32 v9, v9, v12
	;; [unrolled: 1-line block ×6, first 2 shown]
	v_fma_f16 v13, v0, s4, v18
	v_fma_f16 v15, v1, s4, v19
	;; [unrolled: 1-line block ×6, first 2 shown]
	v_add_f16_e32 v10, v15, v5
	v_sub_f16_e32 v11, v9, v13
	v_pack_b32_f16 v8, v8, v14
	v_add_f16_e32 v18, v1, v7
	v_sub_f16_e32 v19, v12, v0
	v_sub_f16_e32 v1, v7, v1
	v_add_f16_e32 v0, v0, v12
	global_store_dword v[2:3], v8, off offset:448
	v_pack_b32_f16 v8, v10, v11
	v_sub_f16_e32 v20, v16, v4
	v_add_f16_e32 v21, v6, v17
	v_add_f16_e32 v4, v4, v16
	v_sub_f16_e32 v6, v17, v6
	v_sub_f16_e32 v5, v5, v15
	v_add_f16_e32 v7, v13, v9
	global_store_dword v[2:3], v8, off offset:928
	v_pack_b32_f16 v8, v18, v19
	v_pack_b32_f16 v0, v1, v0
	global_store_dword v[2:3], v8, off offset:1408
	v_pack_b32_f16 v8, v20, v21
	v_pack_b32_f16 v4, v4, v6
	global_store_dword v[2:3], v0, off offset:2848
	v_pack_b32_f16 v0, v5, v7
	global_store_dword v[2:3], v8, off offset:1888
	global_store_dword v[2:3], v4, off offset:2368
	;; [unrolled: 1-line block ×3, first 2 shown]
.LBB0_40:
	s_endpgm
	.section	.rodata,"a",@progbits
	.p2align	6, 0x0
	.amdhsa_kernel fft_rtc_back_len840_factors_2_2_2_3_5_7_wgs_56_tpt_56_halfLds_half_ip_CI_unitstride_sbrr_dirReg
		.amdhsa_group_segment_fixed_size 0
		.amdhsa_private_segment_fixed_size 0
		.amdhsa_kernarg_size 88
		.amdhsa_user_sgpr_count 6
		.amdhsa_user_sgpr_private_segment_buffer 1
		.amdhsa_user_sgpr_dispatch_ptr 0
		.amdhsa_user_sgpr_queue_ptr 0
		.amdhsa_user_sgpr_kernarg_segment_ptr 1
		.amdhsa_user_sgpr_dispatch_id 0
		.amdhsa_user_sgpr_flat_scratch_init 0
		.amdhsa_user_sgpr_private_segment_size 0
		.amdhsa_uses_dynamic_stack 0
		.amdhsa_system_sgpr_private_segment_wavefront_offset 0
		.amdhsa_system_sgpr_workgroup_id_x 1
		.amdhsa_system_sgpr_workgroup_id_y 0
		.amdhsa_system_sgpr_workgroup_id_z 0
		.amdhsa_system_sgpr_workgroup_info 0
		.amdhsa_system_vgpr_workitem_id 0
		.amdhsa_next_free_vgpr 71
		.amdhsa_next_free_sgpr 22
		.amdhsa_reserve_vcc 1
		.amdhsa_reserve_flat_scratch 0
		.amdhsa_float_round_mode_32 0
		.amdhsa_float_round_mode_16_64 0
		.amdhsa_float_denorm_mode_32 3
		.amdhsa_float_denorm_mode_16_64 3
		.amdhsa_dx10_clamp 1
		.amdhsa_ieee_mode 1
		.amdhsa_fp16_overflow 0
		.amdhsa_exception_fp_ieee_invalid_op 0
		.amdhsa_exception_fp_denorm_src 0
		.amdhsa_exception_fp_ieee_div_zero 0
		.amdhsa_exception_fp_ieee_overflow 0
		.amdhsa_exception_fp_ieee_underflow 0
		.amdhsa_exception_fp_ieee_inexact 0
		.amdhsa_exception_int_div_zero 0
	.end_amdhsa_kernel
	.text
.Lfunc_end0:
	.size	fft_rtc_back_len840_factors_2_2_2_3_5_7_wgs_56_tpt_56_halfLds_half_ip_CI_unitstride_sbrr_dirReg, .Lfunc_end0-fft_rtc_back_len840_factors_2_2_2_3_5_7_wgs_56_tpt_56_halfLds_half_ip_CI_unitstride_sbrr_dirReg
                                        ; -- End function
	.section	.AMDGPU.csdata,"",@progbits
; Kernel info:
; codeLenInByte = 10932
; NumSgprs: 26
; NumVgprs: 71
; ScratchSize: 0
; MemoryBound: 0
; FloatMode: 240
; IeeeMode: 1
; LDSByteSize: 0 bytes/workgroup (compile time only)
; SGPRBlocks: 3
; VGPRBlocks: 17
; NumSGPRsForWavesPerEU: 26
; NumVGPRsForWavesPerEU: 71
; Occupancy: 3
; WaveLimiterHint : 1
; COMPUTE_PGM_RSRC2:SCRATCH_EN: 0
; COMPUTE_PGM_RSRC2:USER_SGPR: 6
; COMPUTE_PGM_RSRC2:TRAP_HANDLER: 0
; COMPUTE_PGM_RSRC2:TGID_X_EN: 1
; COMPUTE_PGM_RSRC2:TGID_Y_EN: 0
; COMPUTE_PGM_RSRC2:TGID_Z_EN: 0
; COMPUTE_PGM_RSRC2:TIDIG_COMP_CNT: 0
	.type	__hip_cuid_7c61086669f7b87d,@object ; @__hip_cuid_7c61086669f7b87d
	.section	.bss,"aw",@nobits
	.globl	__hip_cuid_7c61086669f7b87d
__hip_cuid_7c61086669f7b87d:
	.byte	0                               ; 0x0
	.size	__hip_cuid_7c61086669f7b87d, 1

	.ident	"AMD clang version 19.0.0git (https://github.com/RadeonOpenCompute/llvm-project roc-6.4.0 25133 c7fe45cf4b819c5991fe208aaa96edf142730f1d)"
	.section	".note.GNU-stack","",@progbits
	.addrsig
	.addrsig_sym __hip_cuid_7c61086669f7b87d
	.amdgpu_metadata
---
amdhsa.kernels:
  - .args:
      - .actual_access:  read_only
        .address_space:  global
        .offset:         0
        .size:           8
        .value_kind:     global_buffer
      - .offset:         8
        .size:           8
        .value_kind:     by_value
      - .actual_access:  read_only
        .address_space:  global
        .offset:         16
        .size:           8
        .value_kind:     global_buffer
      - .actual_access:  read_only
        .address_space:  global
        .offset:         24
        .size:           8
        .value_kind:     global_buffer
      - .offset:         32
        .size:           8
        .value_kind:     by_value
      - .actual_access:  read_only
        .address_space:  global
        .offset:         40
        .size:           8
        .value_kind:     global_buffer
      - .actual_access:  read_only
        .address_space:  global
        .offset:         48
        .size:           8
        .value_kind:     global_buffer
      - .offset:         56
        .size:           4
        .value_kind:     by_value
      - .actual_access:  read_only
        .address_space:  global
        .offset:         64
        .size:           8
        .value_kind:     global_buffer
      - .actual_access:  read_only
        .address_space:  global
        .offset:         72
        .size:           8
        .value_kind:     global_buffer
      - .address_space:  global
        .offset:         80
        .size:           8
        .value_kind:     global_buffer
    .group_segment_fixed_size: 0
    .kernarg_segment_align: 8
    .kernarg_segment_size: 88
    .language:       OpenCL C
    .language_version:
      - 2
      - 0
    .max_flat_workgroup_size: 56
    .name:           fft_rtc_back_len840_factors_2_2_2_3_5_7_wgs_56_tpt_56_halfLds_half_ip_CI_unitstride_sbrr_dirReg
    .private_segment_fixed_size: 0
    .sgpr_count:     26
    .sgpr_spill_count: 0
    .symbol:         fft_rtc_back_len840_factors_2_2_2_3_5_7_wgs_56_tpt_56_halfLds_half_ip_CI_unitstride_sbrr_dirReg.kd
    .uniform_work_group_size: 1
    .uses_dynamic_stack: false
    .vgpr_count:     71
    .vgpr_spill_count: 0
    .wavefront_size: 64
amdhsa.target:   amdgcn-amd-amdhsa--gfx906
amdhsa.version:
  - 1
  - 2
...

	.end_amdgpu_metadata
